;; amdgpu-corpus repo=zjin-lcf/HeCBench kind=compiled arch=gfx1250 opt=O3
	.amdgcn_target "amdgcn-amd-amdhsa--gfx1250"
	.amdhsa_code_object_version 6
	.text
	.protected	_Z11jacobi_stepPfPKfS_  ; -- Begin function _Z11jacobi_stepPfPKfS_
	.globl	_Z11jacobi_stepPfPKfS_
	.p2align	8
	.type	_Z11jacobi_stepPfPKfS_,@function
_Z11jacobi_stepPfPKfS_:                 ; @_Z11jacobi_stepPfPKfS_
; %bb.0:
	s_load_b32 s2, s[0:1], 0x24
	s_bfe_u32 s4, ttmp6, 0x4000c
	s_bfe_u32 s5, ttmp6, 0x40010
	s_add_co_i32 s4, s4, 1
	s_add_co_i32 s5, s5, 1
	s_and_b32 s3, ttmp6, 15
	s_bfe_u32 s6, ttmp6, 0x40004
	s_mul_i32 s4, ttmp9, s4
	s_mul_i32 s5, ttmp7, s5
	s_getreg_b32 s7, hwreg(HW_REG_IB_STS2, 6, 4)
	v_and_b32_e32 v2, 0x3ff, v0
	v_bfe_u32 v4, v0, 10, 10
	s_add_co_i32 s3, s3, s4
	s_add_co_i32 s6, s6, s5
	s_load_b64 s[4:5], s[0:1], 0x8
	v_cmp_eq_u32_e32 vcc_lo, 0, v2
	s_wait_kmcnt 0x0
	s_and_b32 s8, s2, 0xffff
	s_lshr_b32 s2, s2, 16
	s_cmp_eq_u32 s7, 0
	s_cselect_b32 s6, ttmp7, s6
	s_cselect_b32 s3, ttmp9, s3
	v_mad_u32 v7, s6, s2, v4
	v_mad_u32 v8, s3, s8, v2
	s_delay_alu instid0(VALU_DEP_1)
	v_lshl_add_u32 v0, v7, 11, v8
	v_lshlrev_b32_e32 v5, 2, v2
	v_cmp_lt_i32_e64 s2, 0, v8
	global_load_b32 v3, v0, s[4:5] scale_offset
	v_ashrrev_i32_e32 v1, 31, v0
	v_mad_u32_u24 v6, 0x48, v4, v5
	s_and_b32 s3, vcc_lo, s2
	s_wait_loadcnt 0x0
	ds_store_b32 v6, v3 offset:76
	s_and_saveexec_b32 s2, s3
	s_cbranch_execz .LBB0_2
; %bb.1:
	v_add_nc_u32_e32 v3, -1, v0
	v_mul_u32_u24_e32 v9, 0x48, v4
	global_load_b32 v3, v3, s[4:5] scale_offset
	s_wait_loadcnt 0x0
	ds_store_b32 v9, v3 offset:72
.LBB0_2:
	s_or_b32 exec_lo, exec_lo, s2
	v_cmp_eq_u32_e64 s2, 15, v2
	v_cmp_gt_i32_e64 s3, 0x7ff, v8
	v_lshl_add_u64 v[2:3], v[0:1], 2, s[4:5]
	s_and_b32 s3, s2, s3
	s_delay_alu instid0(SALU_CYCLE_1)
	s_and_saveexec_b32 s2, s3
	s_cbranch_execz .LBB0_4
; %bb.3:
	global_load_b32 v9, v[2:3], off offset:4
	s_wait_loadcnt 0x0
	ds_store_b32 v6, v9 offset:80
.LBB0_4:
	s_or_b32 exec_lo, exec_lo, s2
	v_cmp_eq_u32_e64 s2, 0, v4
	v_cmp_lt_i32_e64 s3, 0, v7
	s_and_b32 s6, s2, s3
	s_delay_alu instid0(SALU_CYCLE_1)
	s_and_saveexec_b32 s3, s6
	s_cbranch_execz .LBB0_6
; %bb.5:
	v_add_nc_u32_e32 v9, 0xfffff800, v0
	global_load_b32 v9, v9, s[4:5] scale_offset
	s_wait_loadcnt 0x0
	ds_store_b32 v6, v9 offset:4
.LBB0_6:
	s_or_b32 exec_lo, exec_lo, s3
	v_cmp_eq_u32_e64 s3, 15, v4
	v_cmp_gt_i32_e64 s4, 0x7ff, v7
	s_and_b32 s4, s3, s4
	s_delay_alu instid0(SALU_CYCLE_1)
	s_and_saveexec_b32 s3, s4
	s_cbranch_execz .LBB0_8
; %bb.7:
	global_load_b32 v2, v[2:3], off offset:8192
	s_wait_loadcnt 0x0
	ds_store_b32 v6, v2 offset:148
.LBB0_8:
	s_or_b32 exec_lo, exec_lo, s3
	v_add_nc_u32_e32 v2, -1, v7
	s_wait_dscnt 0x0
	s_barrier_signal -1
	s_barrier_wait -1
	s_delay_alu instid0(VALU_DEP_1) | instskip(NEXT) | instid1(VALU_DEP_1)
	v_add_max_u32_e64 v2, v8, -1, v2
	v_cmp_gt_u32_e64 s3, 0x7fe, v2
	v_mov_b32_e32 v2, 0
	s_and_saveexec_b32 s4, s3
	s_cbranch_execz .LBB0_10
; %bb.9:
	ds_load_2addr_b32 v[2:3], v6 offset0:1 offset1:20
	ds_load_2addr_b32 v[8:9], v6 offset0:18 offset1:19
	ds_load_b32 v6, v6 offset:148
	s_load_b64 s[6:7], s[0:1], 0x0
	s_wait_dscnt 0x1
	v_add_f32_e32 v3, v3, v8
	s_wait_kmcnt 0x0
	v_lshl_add_u64 v[0:1], v[0:1], 2, s[6:7]
	s_wait_dscnt 0x0
	s_delay_alu instid0(VALU_DEP_2) | instskip(NEXT) | instid1(VALU_DEP_1)
	v_add_f32_e32 v3, v3, v6
	v_add_f32_e32 v2, v3, v2
	s_delay_alu instid0(VALU_DEP_1) | instskip(SKIP_1) | instid1(VALU_DEP_2)
	v_fma_f32 v3, 0x3e800000, v2, -v9
	v_mul_f32_e32 v6, 0x3e800000, v2
	v_mul_f32_e32 v2, v3, v3
	global_store_b32 v[0:1], v6, off
.LBB0_10:
	s_wait_xcnt 0x0
	s_or_b32 exec_lo, exec_lo, s4
	v_mbcnt_lo_u32_b32 v3, -1, 0
	s_delay_alu instid0(VALU_DEP_1) | instskip(NEXT) | instid1(VALU_DEP_1)
	v_cmp_gt_u32_e64 s3, 24, v3
	v_cndmask_b32_e64 v0, 0, 8, s3
	v_cmp_gt_u32_e64 s3, 28, v3
	s_delay_alu instid0(VALU_DEP_2) | instskip(NEXT) | instid1(VALU_DEP_2)
	v_add_lshl_u32 v0, v0, v3, 2
	v_cndmask_b32_e64 v1, 0, 4, s3
	v_cmp_gt_u32_e64 s3, 30, v3
	ds_bpermute_b32 v6, v0, v2
	v_add_lshl_u32 v1, v1, v3, 2
	s_wait_dscnt 0x0
	v_add_f32_e32 v6, v2, v6
	v_cndmask_b32_e64 v2, 0, 2, s3
	v_cmp_ne_u32_e64 s3, 31, v3
	s_delay_alu instid0(VALU_DEP_2) | instskip(NEXT) | instid1(VALU_DEP_2)
	v_add_lshl_u32 v2, v2, v3, 2
	v_add_co_ci_u32_e64 v3, null, 0, v3, s3
	s_delay_alu instid0(VALU_DEP_1)
	v_lshlrev_b32_e32 v3, 2, v3
	ds_bpermute_b32 v7, v1, v6
	s_wait_dscnt 0x0
	v_add_f32_e32 v6, v6, v7
	ds_bpermute_b32 v7, v2, v6
	s_wait_dscnt 0x0
	v_add_f32_e32 v6, v6, v7
	ds_bpermute_b32 v7, v3, v6
	s_and_saveexec_b32 s3, vcc_lo
	s_cbranch_execz .LBB0_12
; %bb.11:
	s_wait_dscnt 0x0
	v_dual_add_f32 v6, v6, v7 :: v_dual_lshlrev_b32 v4, 2, v4
	ds_store_b32 v4, v6 offset:1296
.LBB0_12:
	s_or_b32 exec_lo, exec_lo, s3
	s_wait_storecnt_dscnt 0x0
	s_barrier_signal -1
	s_barrier_wait -1
	s_and_saveexec_b32 s3, s2
	s_cbranch_execz .LBB0_18
; %bb.13:
	ds_load_b32 v4, v5 offset:1296
	s_wait_dscnt 0x0
	ds_bpermute_b32 v0, v0, v4
	s_wait_dscnt 0x0
	v_add_f32_e32 v0, v4, v0
	ds_bpermute_b32 v1, v1, v0
	s_wait_dscnt 0x0
	v_add_f32_e32 v0, v0, v1
	;; [unrolled: 3-line block ×3, first 2 shown]
	ds_bpermute_b32 v1, v3, v0
	s_and_b32 exec_lo, exec_lo, vcc_lo
	s_cbranch_execz .LBB0_18
; %bb.14:
	s_load_b64 s[0:1], s[0:1], 0x10
	s_wait_dscnt 0x0
	v_add_f32_e32 v0, v0, v1
	s_mov_b32 s3, exec_lo
	s_brev_b32 s2, 1
.LBB0_15:                               ; =>This Inner Loop Header: Depth=1
	s_ctz_i32_b32 s4, s3
	s_delay_alu instid0(VALU_DEP_1) | instid1(SALU_CYCLE_1)
	v_readlane_b32 s5, v0, s4
	s_lshl_b32 s4, 1, s4
	s_delay_alu instid0(SALU_CYCLE_1) | instskip(NEXT) | instid1(SALU_CYCLE_1)
	s_and_not1_b32 s3, s3, s4
	s_cmp_lg_u32 s3, 0
	s_add_f32 s2, s2, s5
	s_cbranch_scc1 .LBB0_15
; %bb.16:
	v_mbcnt_lo_u32_b32 v0, exec_lo, 0
	s_mov_b32 s3, exec_lo
	s_delay_alu instid0(VALU_DEP_1)
	v_cmpx_eq_u32_e32 0, v0
	s_xor_b32 s3, exec_lo, s3
	s_cbranch_execz .LBB0_18
; %bb.17:
	v_dual_mov_b32 v0, 0 :: v_dual_mov_b32 v1, s2
	s_wait_xcnt 0x0
	s_wait_kmcnt 0x0
	global_atomic_add_f32 v0, v1, s[0:1] scope:SCOPE_DEV
.LBB0_18:
	s_endpgm
	.section	.rodata,"a",@progbits
	.p2align	6, 0x0
	.amdhsa_kernel _Z11jacobi_stepPfPKfS_
		.amdhsa_group_segment_fixed_size 1360
		.amdhsa_private_segment_fixed_size 0
		.amdhsa_kernarg_size 280
		.amdhsa_user_sgpr_count 2
		.amdhsa_user_sgpr_dispatch_ptr 0
		.amdhsa_user_sgpr_queue_ptr 0
		.amdhsa_user_sgpr_kernarg_segment_ptr 1
		.amdhsa_user_sgpr_dispatch_id 0
		.amdhsa_user_sgpr_kernarg_preload_length 0
		.amdhsa_user_sgpr_kernarg_preload_offset 0
		.amdhsa_user_sgpr_private_segment_size 0
		.amdhsa_wavefront_size32 1
		.amdhsa_uses_dynamic_stack 0
		.amdhsa_enable_private_segment 0
		.amdhsa_system_sgpr_workgroup_id_x 1
		.amdhsa_system_sgpr_workgroup_id_y 1
		.amdhsa_system_sgpr_workgroup_id_z 0
		.amdhsa_system_sgpr_workgroup_info 0
		.amdhsa_system_vgpr_workitem_id 1
		.amdhsa_next_free_vgpr 10
		.amdhsa_next_free_sgpr 9
		.amdhsa_named_barrier_count 0
		.amdhsa_reserve_vcc 1
		.amdhsa_float_round_mode_32 0
		.amdhsa_float_round_mode_16_64 0
		.amdhsa_float_denorm_mode_32 3
		.amdhsa_float_denorm_mode_16_64 3
		.amdhsa_fp16_overflow 0
		.amdhsa_memory_ordered 1
		.amdhsa_forward_progress 1
		.amdhsa_inst_pref_size 9
		.amdhsa_round_robin_scheduling 0
		.amdhsa_exception_fp_ieee_invalid_op 0
		.amdhsa_exception_fp_denorm_src 0
		.amdhsa_exception_fp_ieee_div_zero 0
		.amdhsa_exception_fp_ieee_overflow 0
		.amdhsa_exception_fp_ieee_underflow 0
		.amdhsa_exception_fp_ieee_inexact 0
		.amdhsa_exception_int_div_zero 0
	.end_amdhsa_kernel
	.text
.Lfunc_end0:
	.size	_Z11jacobi_stepPfPKfS_, .Lfunc_end0-_Z11jacobi_stepPfPKfS_
                                        ; -- End function
	.set _Z11jacobi_stepPfPKfS_.num_vgpr, 10
	.set _Z11jacobi_stepPfPKfS_.num_agpr, 0
	.set _Z11jacobi_stepPfPKfS_.numbered_sgpr, 9
	.set _Z11jacobi_stepPfPKfS_.num_named_barrier, 0
	.set _Z11jacobi_stepPfPKfS_.private_seg_size, 0
	.set _Z11jacobi_stepPfPKfS_.uses_vcc, 1
	.set _Z11jacobi_stepPfPKfS_.uses_flat_scratch, 0
	.set _Z11jacobi_stepPfPKfS_.has_dyn_sized_stack, 0
	.set _Z11jacobi_stepPfPKfS_.has_recursion, 0
	.set _Z11jacobi_stepPfPKfS_.has_indirect_call, 0
	.section	.AMDGPU.csdata,"",@progbits
; Kernel info:
; codeLenInByte = 1052
; TotalNumSgprs: 11
; NumVgprs: 10
; ScratchSize: 0
; MemoryBound: 0
; FloatMode: 240
; IeeeMode: 1
; LDSByteSize: 1360 bytes/workgroup (compile time only)
; SGPRBlocks: 0
; VGPRBlocks: 0
; NumSGPRsForWavesPerEU: 11
; NumVGPRsForWavesPerEU: 10
; NamedBarCnt: 0
; Occupancy: 16
; WaveLimiterHint : 0
; COMPUTE_PGM_RSRC2:SCRATCH_EN: 0
; COMPUTE_PGM_RSRC2:USER_SGPR: 2
; COMPUTE_PGM_RSRC2:TRAP_HANDLER: 0
; COMPUTE_PGM_RSRC2:TGID_X_EN: 1
; COMPUTE_PGM_RSRC2:TGID_Y_EN: 1
; COMPUTE_PGM_RSRC2:TGID_Z_EN: 0
; COMPUTE_PGM_RSRC2:TIDIG_COMP_CNT: 1
	.text
	.p2alignl 7, 3214868480
	.fill 96, 4, 3214868480
	.section	.AMDGPU.gpr_maximums,"",@progbits
	.set amdgpu.max_num_vgpr, 0
	.set amdgpu.max_num_agpr, 0
	.set amdgpu.max_num_sgpr, 0
	.text
	.type	__hip_cuid_90cd731ce4305e4b,@object ; @__hip_cuid_90cd731ce4305e4b
	.section	.bss,"aw",@nobits
	.globl	__hip_cuid_90cd731ce4305e4b
__hip_cuid_90cd731ce4305e4b:
	.byte	0                               ; 0x0
	.size	__hip_cuid_90cd731ce4305e4b, 1

	.ident	"AMD clang version 22.0.0git (https://github.com/RadeonOpenCompute/llvm-project roc-7.2.4 26084 f58b06dce1f9c15707c5f808fd002e18c2accf7e)"
	.section	".note.GNU-stack","",@progbits
	.addrsig
	.addrsig_sym __hip_cuid_90cd731ce4305e4b
	.amdgpu_metadata
---
amdhsa.kernels:
  - .args:
      - .actual_access:  write_only
        .address_space:  global
        .offset:         0
        .size:           8
        .value_kind:     global_buffer
      - .actual_access:  read_only
        .address_space:  global
        .offset:         8
        .size:           8
        .value_kind:     global_buffer
      - .address_space:  global
        .offset:         16
        .size:           8
        .value_kind:     global_buffer
      - .offset:         24
        .size:           4
        .value_kind:     hidden_block_count_x
      - .offset:         28
        .size:           4
        .value_kind:     hidden_block_count_y
      - .offset:         32
        .size:           4
        .value_kind:     hidden_block_count_z
      - .offset:         36
        .size:           2
        .value_kind:     hidden_group_size_x
      - .offset:         38
        .size:           2
        .value_kind:     hidden_group_size_y
      - .offset:         40
        .size:           2
        .value_kind:     hidden_group_size_z
      - .offset:         42
        .size:           2
        .value_kind:     hidden_remainder_x
      - .offset:         44
        .size:           2
        .value_kind:     hidden_remainder_y
      - .offset:         46
        .size:           2
        .value_kind:     hidden_remainder_z
      - .offset:         64
        .size:           8
        .value_kind:     hidden_global_offset_x
      - .offset:         72
        .size:           8
        .value_kind:     hidden_global_offset_y
      - .offset:         80
        .size:           8
        .value_kind:     hidden_global_offset_z
      - .offset:         88
        .size:           2
        .value_kind:     hidden_grid_dims
    .group_segment_fixed_size: 1360
    .kernarg_segment_align: 8
    .kernarg_segment_size: 280
    .language:       OpenCL C
    .language_version:
      - 2
      - 0
    .max_flat_workgroup_size: 1024
    .name:           _Z11jacobi_stepPfPKfS_
    .private_segment_fixed_size: 0
    .sgpr_count:     11
    .sgpr_spill_count: 0
    .symbol:         _Z11jacobi_stepPfPKfS_.kd
    .uniform_work_group_size: 1
    .uses_dynamic_stack: false
    .vgpr_count:     10
    .vgpr_spill_count: 0
    .wavefront_size: 32
amdhsa.target:   amdgcn-amd-amdhsa--gfx1250
amdhsa.version:
  - 1
  - 2
...

	.end_amdgpu_metadata
